;; amdgpu-corpus repo=pytorch/pytorch kind=compiled arch=gfx906 opt=O3
	.amdgcn_target "amdgcn-amd-amdhsa--gfx906"
	.amdhsa_code_object_version 6
	.section	.text._ZN2at6native12_GLOBAL__N_123philox_key_split_kernelEPKmPmll,"axG",@progbits,_ZN2at6native12_GLOBAL__N_123philox_key_split_kernelEPKmPmll,comdat
	.globl	_ZN2at6native12_GLOBAL__N_123philox_key_split_kernelEPKmPmll ; -- Begin function _ZN2at6native12_GLOBAL__N_123philox_key_split_kernelEPKmPmll
	.p2align	8
	.type	_ZN2at6native12_GLOBAL__N_123philox_key_split_kernelEPKmPmll,@function
_ZN2at6native12_GLOBAL__N_123philox_key_split_kernelEPKmPmll: ; @_ZN2at6native12_GLOBAL__N_123philox_key_split_kernelEPKmPmll
; %bb.0:
	s_load_dwordx4 s[8:11], s[4:5], 0x10
	s_load_dword s2, s[4:5], 0x2c
	v_mov_b32_e32 v4, 0
	v_mov_b32_e32 v1, v4
	;; [unrolled: 1-line block ×3, first 2 shown]
	s_waitcnt lgkmcnt(0)
	s_mul_i32 s0, s10, s9
	s_mul_hi_u32 s1, s10, s8
	s_add_i32 s0, s1, s0
	s_mul_i32 s1, s11, s8
	s_add_i32 s3, s0, s1
	s_add_u32 s0, s4, 32
	s_addc_u32 s1, s5, 0
	s_and_b32 s11, s2, 0xffff
	v_mad_u64_u32 v[6:7], s[6:7], s11, v2, v[0:1]
	s_mul_i32 s2, s10, s8
	v_cmp_gt_i64_e32 vcc, s[2:3], v[6:7]
	s_and_saveexec_b64 s[6:7], vcc
	s_cbranch_execz .LBB0_7
; %bb.1:
	s_load_dword s6, s[0:1], 0x0
	s_load_dwordx4 s[12:15], s[4:5], 0x0
	s_lshl_b64 s[0:1], s[8:9], 4
	s_sub_u32 s22, 0, s0
	v_lshlrev_b64 v[8:9], 4, v[6:7]
	s_waitcnt lgkmcnt(0)
	s_mul_hi_u32 s7, s11, s6
	s_mul_i32 s6, s11, s6
	s_mov_b64 s[4:5], 0
	s_subb_u32 s23, 0, s1
	s_lshl_b64 s[10:11], s[6:7], 4
	s_ashr_i32 s16, s9, 31
	s_mov_b32 s24, 0xd2511f53
	s_mov_b32 s25, 0xcd9e8d57
	s_branch .LBB0_3
.LBB0_2:                                ;   in Loop: Header=BB0_3 Depth=1
	s_or_b64 exec, exec, s[0:1]
	v_mad_u64_u32 v[0:1], s[0:1], s22, v10, v[8:9]
	v_mul_lo_u32 v2, s22, v11
	v_mul_lo_u32 v3, s23, v10
	v_add_co_u32_e32 v0, vcc, s12, v0
	v_add3_u32 v1, v3, v1, v2
	v_mov_b32_e32 v2, s13
	v_addc_co_u32_e32 v1, vcc, v2, v1, vcc
	global_load_dwordx4 v[0:3], v[0:1], off
	s_waitcnt vmcnt(0)
	v_add_co_u32_e32 v5, vcc, v2, v10
	v_mul_lo_u32 v10, v5, s24
	v_mul_hi_u32 v5, v5, s24
	v_addc_co_u32_e32 v3, vcc, v3, v11, vcc
	v_xor_b32_e32 v3, v3, v0
	v_xor_b32_e32 v5, v5, v1
	v_mul_lo_u32 v13, v3, s24
	v_mul_hi_u32 v3, v3, s24
	v_mul_lo_u32 v14, v5, s25
	v_mul_hi_u32 v5, v5, s25
	v_add_u32_e32 v12, 0xbb67ae85, v1
	v_xor_b32_e32 v10, v10, v12
	v_add_u32_e32 v11, 0x9e3779b9, v0
	v_xor_b32_e32 v3, v10, v3
	v_xor_b32_e32 v5, v11, v5
	v_mul_lo_u32 v15, v3, s25
	v_mul_hi_u32 v3, v3, s25
	v_mul_lo_u32 v12, v5, s24
	v_mul_hi_u32 v5, v5, s24
	v_add_u32_e32 v10, 0x3c6ef372, v0
	v_add_u32_e32 v11, 0x76cf5d0a, v1
	v_xor_b32_e32 v10, v14, v10
	v_xor_b32_e32 v3, v10, v3
	v_xor_b32_e32 v10, v13, v11
	v_xor_b32_e32 v5, v10, v5
	v_mul_lo_u32 v14, v5, s25
	v_mul_hi_u32 v5, v5, s25
	v_mul_lo_u32 v13, v3, s24
	v_mul_hi_u32 v3, v3, s24
	v_add_u32_e32 v10, 0xdaa66d2b, v0
	v_add_u32_e32 v11, 0x32370b8f, v1
	v_xor_b32_e32 v10, v15, v10
	v_xor_b32_e32 v5, v10, v5
	v_xor_b32_e32 v10, v12, v11
	v_xor_b32_e32 v3, v10, v3
	v_mul_lo_u32 v15, v3, s25
	v_mul_hi_u32 v3, v3, s25
	v_mul_lo_u32 v12, v5, s24
	v_mul_hi_u32 v5, v5, s24
	v_add_u32_e32 v10, 0x78dde6e4, v0
	v_add_u32_e32 v11, 0xed9eba14, v1
	v_xor_b32_e32 v10, v14, v10
	v_xor_b32_e32 v3, v10, v3
	v_xor_b32_e32 v10, v13, v11
	v_xor_b32_e32 v5, v10, v5
	v_mul_lo_u32 v14, v5, s25
	v_mul_hi_u32 v5, v5, s25
	v_mul_lo_u32 v13, v3, s24
	v_mul_hi_u32 v3, v3, s24
	v_add_u32_e32 v10, 0x1715609d, v0
	v_add_u32_e32 v11, 0xa9066899, v1
	v_xor_b32_e32 v10, v15, v10
	v_xor_b32_e32 v5, v10, v5
	v_xor_b32_e32 v10, v12, v11
	v_xor_b32_e32 v3, v10, v3
	v_mul_lo_u32 v15, v3, s25
	v_mul_hi_u32 v3, v3, s25
	v_mul_lo_u32 v12, v5, s24
	v_mul_hi_u32 v5, v5, s24
	v_add_u32_e32 v10, 0xb54cda56, v0
	v_add_u32_e32 v11, 0x646e171e, v1
	v_xor_b32_e32 v10, v14, v10
	v_xor_b32_e32 v3, v10, v3
	v_xor_b32_e32 v10, v13, v11
	v_xor_b32_e32 v5, v10, v5
	v_mul_lo_u32 v14, v5, s25
	v_mul_hi_u32 v5, v5, s25
	v_mul_lo_u32 v13, v3, s24
	v_mul_hi_u32 v3, v3, s24
	v_add_u32_e32 v10, 0x5384540f, v0
	v_add_u32_e32 v11, 0x1fd5c5a3, v1
	v_xor_b32_e32 v10, v15, v10
	v_xor_b32_e32 v5, v10, v5
	v_xor_b32_e32 v10, v12, v11
	v_xor_b32_e32 v3, v10, v3
	v_mul_lo_u32 v12, v3, s25
	v_mul_hi_u32 v3, v3, s25
	v_mul_lo_u32 v11, v5, s24
	v_mul_hi_u32 v5, v5, s24
	v_add_u32_e32 v2, 0x8ff34781, v0
	v_add_u32_e32 v0, 0xf1bbcdc8, v0
	;; [unrolled: 1-line block ×3, first 2 shown]
	v_xor_b32_e32 v0, v14, v0
	v_xor_b32_e32 v0, v0, v3
	;; [unrolled: 1-line block ×4, first 2 shown]
	v_mul_lo_u32 v3, v0, s24
	v_mul_hi_u32 v13, v0, s24
	v_mul_hi_u32 v0, v5, s25
	v_add_u32_e32 v10, 0x96a522ad, v1
	v_mul_lo_u32 v1, v5, s25
	v_xor_b32_e32 v2, v12, v2
	v_xor_b32_e32 v0, v2, v0
	;; [unrolled: 1-line block ×3, first 2 shown]
	v_add_co_u32_e32 v10, vcc, s14, v8
	v_mov_b32_e32 v5, s15
	v_xor_b32_e32 v2, v2, v13
	v_addc_co_u32_e32 v11, vcc, v5, v9, vcc
	global_store_dwordx4 v[10:11], v[0:3], off
	v_add_co_u32_e32 v6, vcc, s6, v6
	v_mov_b32_e32 v0, s7
	v_addc_co_u32_e32 v7, vcc, v7, v0, vcc
	v_add_co_u32_e32 v8, vcc, s10, v8
	v_mov_b32_e32 v0, s11
	v_addc_co_u32_e32 v9, vcc, v9, v0, vcc
	v_cmp_le_i64_e32 vcc, s[2:3], v[6:7]
	s_or_b64 s[4:5], vcc, s[4:5]
	s_andn2_b64 exec, exec, s[4:5]
	s_cbranch_execz .LBB0_7
.LBB0_3:                                ; =>This Inner Loop Header: Depth=1
	v_or_b32_e32 v5, s9, v7
	v_cmp_ne_u64_e32 vcc, 0, v[4:5]
                                        ; implicit-def: $vgpr10_vgpr11
	s_and_saveexec_b64 s[0:1], vcc
	s_xor_b64 s[18:19], exec, s[0:1]
	s_cbranch_execz .LBB0_5
; %bb.4:                                ;   in Loop: Header=BB0_3 Depth=1
	s_add_u32 s0, s8, s16
	s_mov_b32 s17, s16
	s_addc_u32 s1, s9, s16
	s_xor_b64 s[20:21], s[0:1], s[16:17]
	v_cvt_f32_u32_e32 v0, s20
	v_cvt_f32_u32_e32 v1, s21
	s_sub_u32 s17, 0, s20
	s_subb_u32 s26, 0, s21
	v_ashrrev_i32_e32 v5, 31, v7
	v_mac_f32_e32 v0, 0x4f800000, v1
	v_rcp_f32_e32 v0, v0
	v_mul_f32_e32 v0, 0x5f7ffffc, v0
	v_mul_f32_e32 v1, 0x2f800000, v0
	v_trunc_f32_e32 v1, v1
	v_mac_f32_e32 v0, 0xcf800000, v1
	v_cvt_u32_f32_e32 v1, v1
	v_cvt_u32_f32_e32 v0, v0
	v_readfirstlane_b32 s27, v1
	v_readfirstlane_b32 s0, v0
	s_mul_i32 s1, s17, s27
	s_mul_hi_u32 s29, s17, s0
	s_mul_i32 s28, s26, s0
	s_add_i32 s1, s29, s1
	s_add_i32 s1, s1, s28
	s_mul_i32 s30, s17, s0
	s_mul_i32 s29, s0, s1
	s_mul_hi_u32 s31, s0, s30
	s_mul_hi_u32 s28, s0, s1
	s_add_u32 s29, s31, s29
	s_addc_u32 s28, 0, s28
	s_mul_hi_u32 s33, s27, s30
	s_mul_i32 s30, s27, s30
	s_add_u32 s29, s29, s30
	s_mul_hi_u32 s31, s27, s1
	s_addc_u32 s28, s28, s33
	s_addc_u32 s29, s31, 0
	s_mul_i32 s1, s27, s1
	s_add_u32 s1, s28, s1
	s_addc_u32 s28, 0, s29
	s_add_u32 s29, s0, s1
	s_cselect_b64 s[0:1], -1, 0
	s_cmp_lg_u64 s[0:1], 0
	s_addc_u32 s27, s27, s28
	s_mul_i32 s0, s17, s27
	s_mul_hi_u32 s1, s17, s29
	s_add_i32 s0, s1, s0
	s_mul_i32 s26, s26, s29
	s_add_i32 s0, s0, s26
	s_mul_i32 s17, s17, s29
	s_mul_hi_u32 s26, s27, s17
	s_mul_i32 s28, s27, s17
	s_mul_i32 s31, s29, s0
	s_mul_hi_u32 s17, s29, s17
	s_mul_hi_u32 s30, s29, s0
	s_add_u32 s17, s17, s31
	s_addc_u32 s30, 0, s30
	s_add_u32 s17, s17, s28
	s_mul_hi_u32 s1, s27, s0
	s_addc_u32 s17, s30, s26
	s_addc_u32 s1, s1, 0
	s_mul_i32 s0, s27, s0
	s_add_u32 s0, s17, s0
	s_addc_u32 s17, 0, s1
	s_add_u32 s26, s29, s0
	s_cselect_b64 s[0:1], -1, 0
	s_cmp_lg_u64 s[0:1], 0
	v_add_co_u32_e32 v0, vcc, v6, v5
	s_addc_u32 s17, s27, s17
	v_xor_b32_e32 v10, v0, v5
	v_mad_u64_u32 v[0:1], s[0:1], v10, s17, 0
	v_mul_hi_u32 v3, v10, s26
	v_addc_co_u32_e32 v2, vcc, v7, v5, vcc
	v_xor_b32_e32 v11, v2, v5
	v_add_co_u32_e32 v12, vcc, v3, v0
	v_addc_co_u32_e32 v13, vcc, 0, v1, vcc
	v_mad_u64_u32 v[0:1], s[0:1], v11, s26, 0
	v_mad_u64_u32 v[2:3], s[0:1], v11, s17, 0
	v_add_co_u32_e32 v0, vcc, v12, v0
	v_addc_co_u32_e32 v0, vcc, v13, v1, vcc
	v_addc_co_u32_e32 v1, vcc, 0, v3, vcc
	v_add_co_u32_e32 v2, vcc, v0, v2
	v_addc_co_u32_e32 v3, vcc, 0, v1, vcc
	v_mul_lo_u32 v12, s21, v2
	v_mul_lo_u32 v13, s20, v3
	v_mad_u64_u32 v[0:1], s[0:1], s20, v2, 0
	v_add3_u32 v1, v1, v13, v12
	v_sub_u32_e32 v12, v11, v1
	v_mov_b32_e32 v13, s21
	v_sub_co_u32_e32 v0, vcc, v10, v0
	v_subb_co_u32_e64 v10, s[0:1], v12, v13, vcc
	v_subrev_co_u32_e64 v12, s[0:1], s20, v0
	v_subbrev_co_u32_e64 v10, s[0:1], 0, v10, s[0:1]
	v_cmp_le_u32_e64 s[0:1], s21, v10
	v_cndmask_b32_e64 v13, 0, -1, s[0:1]
	v_cmp_le_u32_e64 s[0:1], s20, v12
	v_cndmask_b32_e64 v12, 0, -1, s[0:1]
	v_cmp_eq_u32_e64 s[0:1], s21, v10
	v_cndmask_b32_e64 v10, v13, v12, s[0:1]
	v_add_co_u32_e64 v12, s[0:1], 2, v2
	v_subb_co_u32_e32 v1, vcc, v11, v1, vcc
	v_addc_co_u32_e64 v13, s[0:1], 0, v3, s[0:1]
	v_cmp_le_u32_e32 vcc, s21, v1
	v_add_co_u32_e64 v14, s[0:1], 1, v2
	v_cndmask_b32_e64 v11, 0, -1, vcc
	v_cmp_le_u32_e32 vcc, s20, v0
	v_addc_co_u32_e64 v15, s[0:1], 0, v3, s[0:1]
	v_cndmask_b32_e64 v0, 0, -1, vcc
	v_cmp_eq_u32_e32 vcc, s21, v1
	v_cmp_ne_u32_e64 s[0:1], 0, v10
	v_cndmask_b32_e32 v0, v11, v0, vcc
	v_cmp_ne_u32_e32 vcc, 0, v0
	v_cndmask_b32_e64 v1, v14, v12, s[0:1]
	v_cndmask_b32_e64 v10, v15, v13, s[0:1]
	v_cndmask_b32_e32 v1, v2, v1, vcc
	v_xor_b32_e32 v2, s16, v5
	v_cndmask_b32_e32 v0, v3, v10, vcc
	v_xor_b32_e32 v1, v1, v2
	v_xor_b32_e32 v0, v0, v2
	v_sub_co_u32_e32 v10, vcc, v1, v2
	v_subb_co_u32_e32 v11, vcc, v0, v2, vcc
.LBB0_5:                                ;   in Loop: Header=BB0_3 Depth=1
	s_andn2_saveexec_b64 s[0:1], s[18:19]
	s_cbranch_execz .LBB0_2
; %bb.6:                                ;   in Loop: Header=BB0_3 Depth=1
	v_cvt_f32_u32_e32 v0, s8
	s_sub_i32 s17, 0, s8
	v_mov_b32_e32 v11, v4
	v_rcp_iflag_f32_e32 v0, v0
	v_mul_f32_e32 v0, 0x4f7ffffe, v0
	v_cvt_u32_f32_e32 v0, v0
	v_mul_lo_u32 v1, s17, v0
	v_mul_hi_u32 v1, v0, v1
	v_add_u32_e32 v0, v0, v1
	v_mul_hi_u32 v0, v6, v0
	v_mul_lo_u32 v1, v0, s8
	v_add_u32_e32 v2, 1, v0
	v_sub_u32_e32 v1, v6, v1
	v_subrev_u32_e32 v3, s8, v1
	v_cmp_le_u32_e32 vcc, s8, v1
	v_cndmask_b32_e32 v1, v1, v3, vcc
	v_cndmask_b32_e32 v0, v0, v2, vcc
	v_add_u32_e32 v2, 1, v0
	v_cmp_le_u32_e32 vcc, s8, v1
	v_cndmask_b32_e32 v10, v0, v2, vcc
	s_branch .LBB0_2
.LBB0_7:
	s_endpgm
	.section	.rodata,"a",@progbits
	.p2align	6, 0x0
	.amdhsa_kernel _ZN2at6native12_GLOBAL__N_123philox_key_split_kernelEPKmPmll
		.amdhsa_group_segment_fixed_size 0
		.amdhsa_private_segment_fixed_size 0
		.amdhsa_kernarg_size 288
		.amdhsa_user_sgpr_count 6
		.amdhsa_user_sgpr_private_segment_buffer 1
		.amdhsa_user_sgpr_dispatch_ptr 0
		.amdhsa_user_sgpr_queue_ptr 0
		.amdhsa_user_sgpr_kernarg_segment_ptr 1
		.amdhsa_user_sgpr_dispatch_id 0
		.amdhsa_user_sgpr_flat_scratch_init 0
		.amdhsa_user_sgpr_private_segment_size 0
		.amdhsa_uses_dynamic_stack 0
		.amdhsa_system_sgpr_private_segment_wavefront_offset 0
		.amdhsa_system_sgpr_workgroup_id_x 1
		.amdhsa_system_sgpr_workgroup_id_y 0
		.amdhsa_system_sgpr_workgroup_id_z 0
		.amdhsa_system_sgpr_workgroup_info 0
		.amdhsa_system_vgpr_workitem_id 0
		.amdhsa_next_free_vgpr 16
		.amdhsa_next_free_sgpr 34
		.amdhsa_reserve_vcc 1
		.amdhsa_reserve_flat_scratch 0
		.amdhsa_float_round_mode_32 0
		.amdhsa_float_round_mode_16_64 0
		.amdhsa_float_denorm_mode_32 3
		.amdhsa_float_denorm_mode_16_64 3
		.amdhsa_dx10_clamp 1
		.amdhsa_ieee_mode 1
		.amdhsa_fp16_overflow 0
		.amdhsa_exception_fp_ieee_invalid_op 0
		.amdhsa_exception_fp_denorm_src 0
		.amdhsa_exception_fp_ieee_div_zero 0
		.amdhsa_exception_fp_ieee_overflow 0
		.amdhsa_exception_fp_ieee_underflow 0
		.amdhsa_exception_fp_ieee_inexact 0
		.amdhsa_exception_int_div_zero 0
	.end_amdhsa_kernel
	.section	.text._ZN2at6native12_GLOBAL__N_123philox_key_split_kernelEPKmPmll,"axG",@progbits,_ZN2at6native12_GLOBAL__N_123philox_key_split_kernelEPKmPmll,comdat
.Lfunc_end0:
	.size	_ZN2at6native12_GLOBAL__N_123philox_key_split_kernelEPKmPmll, .Lfunc_end0-_ZN2at6native12_GLOBAL__N_123philox_key_split_kernelEPKmPmll
                                        ; -- End function
	.set _ZN2at6native12_GLOBAL__N_123philox_key_split_kernelEPKmPmll.num_vgpr, 16
	.set _ZN2at6native12_GLOBAL__N_123philox_key_split_kernelEPKmPmll.num_agpr, 0
	.set _ZN2at6native12_GLOBAL__N_123philox_key_split_kernelEPKmPmll.numbered_sgpr, 34
	.set _ZN2at6native12_GLOBAL__N_123philox_key_split_kernelEPKmPmll.num_named_barrier, 0
	.set _ZN2at6native12_GLOBAL__N_123philox_key_split_kernelEPKmPmll.private_seg_size, 0
	.set _ZN2at6native12_GLOBAL__N_123philox_key_split_kernelEPKmPmll.uses_vcc, 1
	.set _ZN2at6native12_GLOBAL__N_123philox_key_split_kernelEPKmPmll.uses_flat_scratch, 0
	.set _ZN2at6native12_GLOBAL__N_123philox_key_split_kernelEPKmPmll.has_dyn_sized_stack, 0
	.set _ZN2at6native12_GLOBAL__N_123philox_key_split_kernelEPKmPmll.has_recursion, 0
	.set _ZN2at6native12_GLOBAL__N_123philox_key_split_kernelEPKmPmll.has_indirect_call, 0
	.section	.AMDGPU.csdata,"",@progbits
; Kernel info:
; codeLenInByte = 1632
; TotalNumSgprs: 38
; NumVgprs: 16
; ScratchSize: 0
; MemoryBound: 0
; FloatMode: 240
; IeeeMode: 1
; LDSByteSize: 0 bytes/workgroup (compile time only)
; SGPRBlocks: 4
; VGPRBlocks: 3
; NumSGPRsForWavesPerEU: 38
; NumVGPRsForWavesPerEU: 16
; Occupancy: 10
; WaveLimiterHint : 0
; COMPUTE_PGM_RSRC2:SCRATCH_EN: 0
; COMPUTE_PGM_RSRC2:USER_SGPR: 6
; COMPUTE_PGM_RSRC2:TRAP_HANDLER: 0
; COMPUTE_PGM_RSRC2:TGID_X_EN: 1
; COMPUTE_PGM_RSRC2:TGID_Y_EN: 0
; COMPUTE_PGM_RSRC2:TGID_Z_EN: 0
; COMPUTE_PGM_RSRC2:TIDIG_COMP_CNT: 0
	.section	.text._ZN2at6native12_GLOBAL__N_125philox_key_fold_in_kernelEPKmPmll,"axG",@progbits,_ZN2at6native12_GLOBAL__N_125philox_key_fold_in_kernelEPKmPmll,comdat
	.globl	_ZN2at6native12_GLOBAL__N_125philox_key_fold_in_kernelEPKmPmll ; -- Begin function _ZN2at6native12_GLOBAL__N_125philox_key_fold_in_kernelEPKmPmll
	.p2align	8
	.type	_ZN2at6native12_GLOBAL__N_125philox_key_fold_in_kernelEPKmPmll,@function
_ZN2at6native12_GLOBAL__N_125philox_key_fold_in_kernelEPKmPmll: ; @_ZN2at6native12_GLOBAL__N_125philox_key_fold_in_kernelEPKmPmll
; %bb.0:
	s_load_dword s7, s[4:5], 0x2c
	s_load_dwordx4 s[0:3], s[4:5], 0x10
	s_add_u32 s12, s4, 32
	s_addc_u32 s13, s5, 0
	v_mov_b32_e32 v1, 0
	s_waitcnt lgkmcnt(0)
	s_and_b32 s7, s7, 0xffff
	v_mov_b32_e32 v2, s6
	v_mad_u64_u32 v[4:5], s[8:9], s7, v2, v[0:1]
	v_cmp_gt_i64_e32 vcc, s[0:1], v[4:5]
	s_and_saveexec_b64 s[8:9], vcc
	s_cbranch_execz .LBB1_3
; %bb.1:
	s_load_dword s6, s[12:13], 0x0
	s_load_dwordx4 s[8:11], s[4:5], 0x0
	v_lshlrev_b64 v[6:7], 4, v[4:5]
	v_mov_b32_e32 v9, s3
	s_mov_b32 s3, 0xd2511f53
	s_waitcnt lgkmcnt(0)
	s_mul_hi_u32 s5, s7, s6
	s_mul_i32 s4, s7, s6
	s_add_u32 s12, s10, 8
	s_addc_u32 s13, s11, 0
	s_lshl_b64 s[6:7], s[4:5], 4
	s_mov_b64 s[10:11], 0
	v_mov_b32_e32 v8, s9
	s_mov_b32 s9, 0xcd9e8d57
	v_mov_b32_e32 v10, s13
	v_mov_b32_e32 v11, s5
	;; [unrolled: 1-line block ×3, first 2 shown]
.LBB1_2:                                ; =>This Inner Loop Header: Depth=1
	v_add_co_u32_e32 v0, vcc, s8, v6
	v_addc_co_u32_e32 v1, vcc, v8, v7, vcc
	global_load_dwordx4 v[0:3], v[0:1], off
	s_waitcnt vmcnt(0)
	v_add_co_u32_e32 v13, vcc, s2, v2
	v_mul_lo_u32 v14, v13, s3
	v_mul_hi_u32 v13, v13, s3
	v_addc_co_u32_e32 v3, vcc, v3, v9, vcc
	v_xor_b32_e32 v3, v3, v0
	v_xor_b32_e32 v13, v13, v1
	v_mul_lo_u32 v17, v3, s3
	v_mul_hi_u32 v3, v3, s3
	v_mul_lo_u32 v18, v13, s9
	v_mul_hi_u32 v13, v13, s9
	v_add_u32_e32 v16, 0xbb67ae85, v1
	v_xor_b32_e32 v14, v14, v16
	v_add_u32_e32 v15, 0x9e3779b9, v0
	v_xor_b32_e32 v3, v14, v3
	v_xor_b32_e32 v13, v15, v13
	v_mul_lo_u32 v19, v3, s9
	v_mul_hi_u32 v3, v3, s9
	v_mul_lo_u32 v16, v13, s3
	v_mul_hi_u32 v13, v13, s3
	v_add_u32_e32 v14, 0x3c6ef372, v0
	v_add_u32_e32 v15, 0x76cf5d0a, v1
	v_xor_b32_e32 v14, v18, v14
	v_xor_b32_e32 v3, v14, v3
	v_xor_b32_e32 v14, v17, v15
	v_xor_b32_e32 v13, v14, v13
	v_mul_lo_u32 v18, v13, s9
	v_mul_hi_u32 v13, v13, s9
	v_mul_lo_u32 v17, v3, s3
	v_mul_hi_u32 v3, v3, s3
	v_add_u32_e32 v14, 0xdaa66d2b, v0
	v_add_u32_e32 v15, 0x32370b8f, v1
	v_xor_b32_e32 v14, v19, v14
	v_xor_b32_e32 v13, v14, v13
	;; [unrolled: 10-line block ×6, first 2 shown]
	v_xor_b32_e32 v14, v16, v15
	v_xor_b32_e32 v3, v14, v3
	v_mul_lo_u32 v16, v3, s9
	v_mul_hi_u32 v3, v3, s9
	v_mul_lo_u32 v15, v13, s3
	v_mul_hi_u32 v13, v13, s3
	v_add_u32_e32 v2, 0x8ff34781, v0
	v_add_u32_e32 v0, 0xf1bbcdc8, v0
	;; [unrolled: 1-line block ×3, first 2 shown]
	v_xor_b32_e32 v0, v18, v0
	v_xor_b32_e32 v0, v0, v3
	;; [unrolled: 1-line block ×4, first 2 shown]
	v_mul_lo_u32 v3, v0, s3
	v_mul_hi_u32 v17, v0, s3
	v_mul_hi_u32 v0, v13, s9
	v_add_u32_e32 v14, 0x96a522ad, v1
	v_mul_lo_u32 v1, v13, s9
	v_xor_b32_e32 v2, v16, v2
	v_add_co_u32_e32 v13, vcc, s12, v6
	v_xor_b32_e32 v0, v2, v0
	v_xor_b32_e32 v2, v15, v14
	v_addc_co_u32_e32 v14, vcc, v10, v7, vcc
	v_add_co_u32_e32 v4, vcc, s4, v4
	v_addc_co_u32_e32 v5, vcc, v5, v11, vcc
	v_add_co_u32_e32 v6, vcc, s6, v6
	v_addc_co_u32_e32 v7, vcc, v7, v12, vcc
	v_cmp_le_i64_e32 vcc, s[0:1], v[4:5]
	v_xor_b32_e32 v2, v2, v17
	s_or_b64 s[10:11], vcc, s[10:11]
	global_store_dwordx4 v[13:14], v[0:3], off offset:-8
	s_andn2_b64 exec, exec, s[10:11]
	s_cbranch_execnz .LBB1_2
.LBB1_3:
	s_endpgm
	.section	.rodata,"a",@progbits
	.p2align	6, 0x0
	.amdhsa_kernel _ZN2at6native12_GLOBAL__N_125philox_key_fold_in_kernelEPKmPmll
		.amdhsa_group_segment_fixed_size 0
		.amdhsa_private_segment_fixed_size 0
		.amdhsa_kernarg_size 288
		.amdhsa_user_sgpr_count 6
		.amdhsa_user_sgpr_private_segment_buffer 1
		.amdhsa_user_sgpr_dispatch_ptr 0
		.amdhsa_user_sgpr_queue_ptr 0
		.amdhsa_user_sgpr_kernarg_segment_ptr 1
		.amdhsa_user_sgpr_dispatch_id 0
		.amdhsa_user_sgpr_flat_scratch_init 0
		.amdhsa_user_sgpr_private_segment_size 0
		.amdhsa_uses_dynamic_stack 0
		.amdhsa_system_sgpr_private_segment_wavefront_offset 0
		.amdhsa_system_sgpr_workgroup_id_x 1
		.amdhsa_system_sgpr_workgroup_id_y 0
		.amdhsa_system_sgpr_workgroup_id_z 0
		.amdhsa_system_sgpr_workgroup_info 0
		.amdhsa_system_vgpr_workitem_id 0
		.amdhsa_next_free_vgpr 20
		.amdhsa_next_free_sgpr 14
		.amdhsa_reserve_vcc 1
		.amdhsa_reserve_flat_scratch 0
		.amdhsa_float_round_mode_32 0
		.amdhsa_float_round_mode_16_64 0
		.amdhsa_float_denorm_mode_32 3
		.amdhsa_float_denorm_mode_16_64 3
		.amdhsa_dx10_clamp 1
		.amdhsa_ieee_mode 1
		.amdhsa_fp16_overflow 0
		.amdhsa_exception_fp_ieee_invalid_op 0
		.amdhsa_exception_fp_denorm_src 0
		.amdhsa_exception_fp_ieee_div_zero 0
		.amdhsa_exception_fp_ieee_overflow 0
		.amdhsa_exception_fp_ieee_underflow 0
		.amdhsa_exception_fp_ieee_inexact 0
		.amdhsa_exception_int_div_zero 0
	.end_amdhsa_kernel
	.section	.text._ZN2at6native12_GLOBAL__N_125philox_key_fold_in_kernelEPKmPmll,"axG",@progbits,_ZN2at6native12_GLOBAL__N_125philox_key_fold_in_kernelEPKmPmll,comdat
.Lfunc_end1:
	.size	_ZN2at6native12_GLOBAL__N_125philox_key_fold_in_kernelEPKmPmll, .Lfunc_end1-_ZN2at6native12_GLOBAL__N_125philox_key_fold_in_kernelEPKmPmll
                                        ; -- End function
	.set _ZN2at6native12_GLOBAL__N_125philox_key_fold_in_kernelEPKmPmll.num_vgpr, 20
	.set _ZN2at6native12_GLOBAL__N_125philox_key_fold_in_kernelEPKmPmll.num_agpr, 0
	.set _ZN2at6native12_GLOBAL__N_125philox_key_fold_in_kernelEPKmPmll.numbered_sgpr, 14
	.set _ZN2at6native12_GLOBAL__N_125philox_key_fold_in_kernelEPKmPmll.num_named_barrier, 0
	.set _ZN2at6native12_GLOBAL__N_125philox_key_fold_in_kernelEPKmPmll.private_seg_size, 0
	.set _ZN2at6native12_GLOBAL__N_125philox_key_fold_in_kernelEPKmPmll.uses_vcc, 1
	.set _ZN2at6native12_GLOBAL__N_125philox_key_fold_in_kernelEPKmPmll.uses_flat_scratch, 0
	.set _ZN2at6native12_GLOBAL__N_125philox_key_fold_in_kernelEPKmPmll.has_dyn_sized_stack, 0
	.set _ZN2at6native12_GLOBAL__N_125philox_key_fold_in_kernelEPKmPmll.has_recursion, 0
	.set _ZN2at6native12_GLOBAL__N_125philox_key_fold_in_kernelEPKmPmll.has_indirect_call, 0
	.section	.AMDGPU.csdata,"",@progbits
; Kernel info:
; codeLenInByte = 828
; TotalNumSgprs: 18
; NumVgprs: 20
; ScratchSize: 0
; MemoryBound: 0
; FloatMode: 240
; IeeeMode: 1
; LDSByteSize: 0 bytes/workgroup (compile time only)
; SGPRBlocks: 2
; VGPRBlocks: 4
; NumSGPRsForWavesPerEU: 18
; NumVGPRsForWavesPerEU: 20
; Occupancy: 10
; WaveLimiterHint : 0
; COMPUTE_PGM_RSRC2:SCRATCH_EN: 0
; COMPUTE_PGM_RSRC2:USER_SGPR: 6
; COMPUTE_PGM_RSRC2:TRAP_HANDLER: 0
; COMPUTE_PGM_RSRC2:TGID_X_EN: 1
; COMPUTE_PGM_RSRC2:TGID_Y_EN: 0
; COMPUTE_PGM_RSRC2:TGID_Z_EN: 0
; COMPUTE_PGM_RSRC2:TIDIG_COMP_CNT: 0
	.section	.AMDGPU.gpr_maximums,"",@progbits
	.set amdgpu.max_num_vgpr, 0
	.set amdgpu.max_num_agpr, 0
	.set amdgpu.max_num_sgpr, 0
	.section	.AMDGPU.csdata,"",@progbits
	.type	__hip_cuid_6ee3f50512b09e77,@object ; @__hip_cuid_6ee3f50512b09e77
	.section	.bss,"aw",@nobits
	.globl	__hip_cuid_6ee3f50512b09e77
__hip_cuid_6ee3f50512b09e77:
	.byte	0                               ; 0x0
	.size	__hip_cuid_6ee3f50512b09e77, 1

	.ident	"AMD clang version 22.0.0git (https://github.com/RadeonOpenCompute/llvm-project roc-7.2.4 26084 f58b06dce1f9c15707c5f808fd002e18c2accf7e)"
	.section	".note.GNU-stack","",@progbits
	.addrsig
	.addrsig_sym __hip_cuid_6ee3f50512b09e77
	.amdgpu_metadata
---
amdhsa.kernels:
  - .args:
      - .actual_access:  read_only
        .address_space:  global
        .offset:         0
        .size:           8
        .value_kind:     global_buffer
      - .actual_access:  write_only
        .address_space:  global
        .offset:         8
        .size:           8
        .value_kind:     global_buffer
      - .offset:         16
        .size:           8
        .value_kind:     by_value
      - .offset:         24
        .size:           8
        .value_kind:     by_value
      - .offset:         32
        .size:           4
        .value_kind:     hidden_block_count_x
      - .offset:         36
        .size:           4
        .value_kind:     hidden_block_count_y
      - .offset:         40
        .size:           4
        .value_kind:     hidden_block_count_z
      - .offset:         44
        .size:           2
        .value_kind:     hidden_group_size_x
      - .offset:         46
        .size:           2
        .value_kind:     hidden_group_size_y
      - .offset:         48
        .size:           2
        .value_kind:     hidden_group_size_z
      - .offset:         50
        .size:           2
        .value_kind:     hidden_remainder_x
      - .offset:         52
        .size:           2
        .value_kind:     hidden_remainder_y
      - .offset:         54
        .size:           2
        .value_kind:     hidden_remainder_z
      - .offset:         72
        .size:           8
        .value_kind:     hidden_global_offset_x
      - .offset:         80
        .size:           8
        .value_kind:     hidden_global_offset_y
      - .offset:         88
        .size:           8
        .value_kind:     hidden_global_offset_z
      - .offset:         96
        .size:           2
        .value_kind:     hidden_grid_dims
    .group_segment_fixed_size: 0
    .kernarg_segment_align: 8
    .kernarg_segment_size: 288
    .language:       OpenCL C
    .language_version:
      - 2
      - 0
    .max_flat_workgroup_size: 1024
    .name:           _ZN2at6native12_GLOBAL__N_123philox_key_split_kernelEPKmPmll
    .private_segment_fixed_size: 0
    .sgpr_count:     38
    .sgpr_spill_count: 0
    .symbol:         _ZN2at6native12_GLOBAL__N_123philox_key_split_kernelEPKmPmll.kd
    .uniform_work_group_size: 1
    .uses_dynamic_stack: false
    .vgpr_count:     16
    .vgpr_spill_count: 0
    .wavefront_size: 64
  - .args:
      - .actual_access:  read_only
        .address_space:  global
        .offset:         0
        .size:           8
        .value_kind:     global_buffer
      - .actual_access:  write_only
        .address_space:  global
        .offset:         8
        .size:           8
        .value_kind:     global_buffer
      - .offset:         16
        .size:           8
        .value_kind:     by_value
      - .offset:         24
        .size:           8
        .value_kind:     by_value
      - .offset:         32
        .size:           4
        .value_kind:     hidden_block_count_x
      - .offset:         36
        .size:           4
        .value_kind:     hidden_block_count_y
      - .offset:         40
        .size:           4
        .value_kind:     hidden_block_count_z
      - .offset:         44
        .size:           2
        .value_kind:     hidden_group_size_x
      - .offset:         46
        .size:           2
        .value_kind:     hidden_group_size_y
      - .offset:         48
        .size:           2
        .value_kind:     hidden_group_size_z
      - .offset:         50
        .size:           2
        .value_kind:     hidden_remainder_x
      - .offset:         52
        .size:           2
        .value_kind:     hidden_remainder_y
      - .offset:         54
        .size:           2
        .value_kind:     hidden_remainder_z
      - .offset:         72
        .size:           8
        .value_kind:     hidden_global_offset_x
      - .offset:         80
        .size:           8
        .value_kind:     hidden_global_offset_y
      - .offset:         88
        .size:           8
        .value_kind:     hidden_global_offset_z
      - .offset:         96
        .size:           2
        .value_kind:     hidden_grid_dims
    .group_segment_fixed_size: 0
    .kernarg_segment_align: 8
    .kernarg_segment_size: 288
    .language:       OpenCL C
    .language_version:
      - 2
      - 0
    .max_flat_workgroup_size: 1024
    .name:           _ZN2at6native12_GLOBAL__N_125philox_key_fold_in_kernelEPKmPmll
    .private_segment_fixed_size: 0
    .sgpr_count:     18
    .sgpr_spill_count: 0
    .symbol:         _ZN2at6native12_GLOBAL__N_125philox_key_fold_in_kernelEPKmPmll.kd
    .uniform_work_group_size: 1
    .uses_dynamic_stack: false
    .vgpr_count:     20
    .vgpr_spill_count: 0
    .wavefront_size: 64
amdhsa.target:   amdgcn-amd-amdhsa--gfx906
amdhsa.version:
  - 1
  - 2
...

	.end_amdgpu_metadata
